;; amdgpu-corpus repo=ROCm/rocFFT kind=compiled arch=gfx906 opt=O3
	.text
	.amdgcn_target "amdgcn-amd-amdhsa--gfx906"
	.amdhsa_code_object_version 6
	.protected	fft_rtc_fwd_len1764_factors_2_2_3_3_7_7_wgs_126_tpt_126_halfLds_sp_op_CI_CI_unitstride_sbrr_R2C_dirReg ; -- Begin function fft_rtc_fwd_len1764_factors_2_2_3_3_7_7_wgs_126_tpt_126_halfLds_sp_op_CI_CI_unitstride_sbrr_R2C_dirReg
	.globl	fft_rtc_fwd_len1764_factors_2_2_3_3_7_7_wgs_126_tpt_126_halfLds_sp_op_CI_CI_unitstride_sbrr_R2C_dirReg
	.p2align	8
	.type	fft_rtc_fwd_len1764_factors_2_2_3_3_7_7_wgs_126_tpt_126_halfLds_sp_op_CI_CI_unitstride_sbrr_R2C_dirReg,@function
fft_rtc_fwd_len1764_factors_2_2_3_3_7_7_wgs_126_tpt_126_halfLds_sp_op_CI_CI_unitstride_sbrr_R2C_dirReg: ; @fft_rtc_fwd_len1764_factors_2_2_3_3_7_7_wgs_126_tpt_126_halfLds_sp_op_CI_CI_unitstride_sbrr_R2C_dirReg
; %bb.0:
	s_load_dwordx4 s[8:11], s[4:5], 0x58
	s_load_dwordx4 s[12:15], s[4:5], 0x0
	;; [unrolled: 1-line block ×3, first 2 shown]
	v_mul_u32_u24_e32 v1, 0x209, v0
	v_add_u32_sdwa v5, s6, v1 dst_sel:DWORD dst_unused:UNUSED_PAD src0_sel:DWORD src1_sel:WORD_1
	v_mov_b32_e32 v3, 0
	s_waitcnt lgkmcnt(0)
	v_cmp_lt_u64_e64 s[0:1], s[14:15], 2
	v_mov_b32_e32 v1, 0
	v_mov_b32_e32 v6, v3
	s_and_b64 vcc, exec, s[0:1]
	v_mov_b32_e32 v2, 0
	s_cbranch_vccnz .LBB0_8
; %bb.1:
	s_load_dwordx2 s[0:1], s[4:5], 0x10
	s_add_u32 s2, s18, 8
	s_addc_u32 s3, s19, 0
	s_add_u32 s6, s16, 8
	v_mov_b32_e32 v1, 0
	s_addc_u32 s7, s17, 0
	v_mov_b32_e32 v2, 0
	s_waitcnt lgkmcnt(0)
	s_add_u32 s20, s0, 8
	v_mov_b32_e32 v17, v2
	s_addc_u32 s21, s1, 0
	s_mov_b64 s[22:23], 1
	v_mov_b32_e32 v16, v1
.LBB0_2:                                ; =>This Inner Loop Header: Depth=1
	s_load_dwordx2 s[24:25], s[20:21], 0x0
                                        ; implicit-def: $vgpr20_vgpr21
	s_waitcnt lgkmcnt(0)
	v_or_b32_e32 v4, s25, v6
	v_cmp_ne_u64_e32 vcc, 0, v[3:4]
	s_and_saveexec_b64 s[0:1], vcc
	s_xor_b64 s[26:27], exec, s[0:1]
	s_cbranch_execz .LBB0_4
; %bb.3:                                ;   in Loop: Header=BB0_2 Depth=1
	v_cvt_f32_u32_e32 v4, s24
	v_cvt_f32_u32_e32 v7, s25
	s_sub_u32 s0, 0, s24
	s_subb_u32 s1, 0, s25
	v_mac_f32_e32 v4, 0x4f800000, v7
	v_rcp_f32_e32 v4, v4
	v_mul_f32_e32 v4, 0x5f7ffffc, v4
	v_mul_f32_e32 v7, 0x2f800000, v4
	v_trunc_f32_e32 v7, v7
	v_mac_f32_e32 v4, 0xcf800000, v7
	v_cvt_u32_f32_e32 v7, v7
	v_cvt_u32_f32_e32 v4, v4
	v_mul_lo_u32 v8, s0, v7
	v_mul_hi_u32 v9, s0, v4
	v_mul_lo_u32 v11, s1, v4
	v_mul_lo_u32 v10, s0, v4
	v_add_u32_e32 v8, v9, v8
	v_add_u32_e32 v8, v8, v11
	v_mul_hi_u32 v9, v4, v10
	v_mul_lo_u32 v11, v4, v8
	v_mul_hi_u32 v13, v4, v8
	v_mul_hi_u32 v12, v7, v10
	v_mul_lo_u32 v10, v7, v10
	v_mul_hi_u32 v14, v7, v8
	v_add_co_u32_e32 v9, vcc, v9, v11
	v_addc_co_u32_e32 v11, vcc, 0, v13, vcc
	v_mul_lo_u32 v8, v7, v8
	v_add_co_u32_e32 v9, vcc, v9, v10
	v_addc_co_u32_e32 v9, vcc, v11, v12, vcc
	v_addc_co_u32_e32 v10, vcc, 0, v14, vcc
	v_add_co_u32_e32 v8, vcc, v9, v8
	v_addc_co_u32_e32 v9, vcc, 0, v10, vcc
	v_add_co_u32_e32 v4, vcc, v4, v8
	v_addc_co_u32_e32 v7, vcc, v7, v9, vcc
	v_mul_lo_u32 v8, s0, v7
	v_mul_hi_u32 v9, s0, v4
	v_mul_lo_u32 v10, s1, v4
	v_mul_lo_u32 v11, s0, v4
	v_add_u32_e32 v8, v9, v8
	v_add_u32_e32 v8, v8, v10
	v_mul_lo_u32 v12, v4, v8
	v_mul_hi_u32 v13, v4, v11
	v_mul_hi_u32 v14, v4, v8
	v_mul_hi_u32 v10, v7, v11
	v_mul_lo_u32 v11, v7, v11
	v_mul_hi_u32 v9, v7, v8
	v_add_co_u32_e32 v12, vcc, v13, v12
	v_addc_co_u32_e32 v13, vcc, 0, v14, vcc
	v_mul_lo_u32 v8, v7, v8
	v_add_co_u32_e32 v11, vcc, v12, v11
	v_addc_co_u32_e32 v10, vcc, v13, v10, vcc
	v_addc_co_u32_e32 v9, vcc, 0, v9, vcc
	v_add_co_u32_e32 v8, vcc, v10, v8
	v_addc_co_u32_e32 v9, vcc, 0, v9, vcc
	v_add_co_u32_e32 v4, vcc, v4, v8
	v_addc_co_u32_e32 v9, vcc, v7, v9, vcc
	v_mad_u64_u32 v[7:8], s[0:1], v5, v9, 0
	v_mul_hi_u32 v10, v5, v4
	v_add_co_u32_e32 v11, vcc, v10, v7
	v_addc_co_u32_e32 v12, vcc, 0, v8, vcc
	v_mad_u64_u32 v[7:8], s[0:1], v6, v4, 0
	v_mad_u64_u32 v[9:10], s[0:1], v6, v9, 0
	v_add_co_u32_e32 v4, vcc, v11, v7
	v_addc_co_u32_e32 v4, vcc, v12, v8, vcc
	v_addc_co_u32_e32 v7, vcc, 0, v10, vcc
	v_add_co_u32_e32 v4, vcc, v4, v9
	v_addc_co_u32_e32 v9, vcc, 0, v7, vcc
	v_mul_lo_u32 v10, s25, v4
	v_mul_lo_u32 v11, s24, v9
	v_mad_u64_u32 v[7:8], s[0:1], s24, v4, 0
	v_add3_u32 v8, v8, v11, v10
	v_sub_u32_e32 v10, v6, v8
	v_mov_b32_e32 v11, s25
	v_sub_co_u32_e32 v7, vcc, v5, v7
	v_subb_co_u32_e64 v10, s[0:1], v10, v11, vcc
	v_subrev_co_u32_e64 v11, s[0:1], s24, v7
	v_subbrev_co_u32_e64 v10, s[0:1], 0, v10, s[0:1]
	v_cmp_le_u32_e64 s[0:1], s25, v10
	v_cndmask_b32_e64 v12, 0, -1, s[0:1]
	v_cmp_le_u32_e64 s[0:1], s24, v11
	v_cndmask_b32_e64 v11, 0, -1, s[0:1]
	v_cmp_eq_u32_e64 s[0:1], s25, v10
	v_cndmask_b32_e64 v10, v12, v11, s[0:1]
	v_add_co_u32_e64 v11, s[0:1], 2, v4
	v_addc_co_u32_e64 v12, s[0:1], 0, v9, s[0:1]
	v_add_co_u32_e64 v13, s[0:1], 1, v4
	v_addc_co_u32_e64 v14, s[0:1], 0, v9, s[0:1]
	v_subb_co_u32_e32 v8, vcc, v6, v8, vcc
	v_cmp_ne_u32_e64 s[0:1], 0, v10
	v_cmp_le_u32_e32 vcc, s25, v8
	v_cndmask_b32_e64 v10, v14, v12, s[0:1]
	v_cndmask_b32_e64 v12, 0, -1, vcc
	v_cmp_le_u32_e32 vcc, s24, v7
	v_cndmask_b32_e64 v7, 0, -1, vcc
	v_cmp_eq_u32_e32 vcc, s25, v8
	v_cndmask_b32_e32 v7, v12, v7, vcc
	v_cmp_ne_u32_e32 vcc, 0, v7
	v_cndmask_b32_e64 v7, v13, v11, s[0:1]
	v_cndmask_b32_e32 v21, v9, v10, vcc
	v_cndmask_b32_e32 v20, v4, v7, vcc
.LBB0_4:                                ;   in Loop: Header=BB0_2 Depth=1
	s_andn2_saveexec_b64 s[0:1], s[26:27]
	s_cbranch_execz .LBB0_6
; %bb.5:                                ;   in Loop: Header=BB0_2 Depth=1
	v_cvt_f32_u32_e32 v4, s24
	s_sub_i32 s26, 0, s24
	v_mov_b32_e32 v21, v3
	v_rcp_iflag_f32_e32 v4, v4
	v_mul_f32_e32 v4, 0x4f7ffffe, v4
	v_cvt_u32_f32_e32 v4, v4
	v_mul_lo_u32 v7, s26, v4
	v_mul_hi_u32 v7, v4, v7
	v_add_u32_e32 v4, v4, v7
	v_mul_hi_u32 v4, v5, v4
	v_mul_lo_u32 v7, v4, s24
	v_add_u32_e32 v8, 1, v4
	v_sub_u32_e32 v7, v5, v7
	v_subrev_u32_e32 v9, s24, v7
	v_cmp_le_u32_e32 vcc, s24, v7
	v_cndmask_b32_e32 v7, v7, v9, vcc
	v_cndmask_b32_e32 v4, v4, v8, vcc
	v_add_u32_e32 v8, 1, v4
	v_cmp_le_u32_e32 vcc, s24, v7
	v_cndmask_b32_e32 v20, v4, v8, vcc
.LBB0_6:                                ;   in Loop: Header=BB0_2 Depth=1
	s_or_b64 exec, exec, s[0:1]
	v_mul_lo_u32 v4, v21, s24
	v_mul_lo_u32 v9, v20, s25
	v_mad_u64_u32 v[7:8], s[0:1], v20, s24, 0
	s_load_dwordx2 s[0:1], s[6:7], 0x0
	s_load_dwordx2 s[24:25], s[2:3], 0x0
	v_add3_u32 v4, v8, v9, v4
	v_sub_co_u32_e32 v5, vcc, v5, v7
	v_subb_co_u32_e32 v4, vcc, v6, v4, vcc
	s_waitcnt lgkmcnt(0)
	v_mul_lo_u32 v6, s0, v4
	v_mul_lo_u32 v7, s1, v5
	v_mad_u64_u32 v[1:2], s[0:1], s0, v5, v[1:2]
	v_mul_lo_u32 v4, s24, v4
	v_mul_lo_u32 v8, s25, v5
	v_mad_u64_u32 v[16:17], s[0:1], s24, v5, v[16:17]
	s_add_u32 s22, s22, 1
	s_addc_u32 s23, s23, 0
	s_add_u32 s2, s2, 8
	v_add3_u32 v17, v8, v17, v4
	s_addc_u32 s3, s3, 0
	v_mov_b32_e32 v4, s14
	s_add_u32 s6, s6, 8
	v_mov_b32_e32 v5, s15
	s_addc_u32 s7, s7, 0
	v_cmp_ge_u64_e32 vcc, s[22:23], v[4:5]
	s_add_u32 s20, s20, 8
	v_add3_u32 v2, v7, v2, v6
	s_addc_u32 s21, s21, 0
	s_cbranch_vccnz .LBB0_9
; %bb.7:                                ;   in Loop: Header=BB0_2 Depth=1
	v_mov_b32_e32 v5, v20
	v_mov_b32_e32 v6, v21
	s_branch .LBB0_2
.LBB0_8:
	v_mov_b32_e32 v17, v2
	v_mov_b32_e32 v21, v6
	;; [unrolled: 1-line block ×4, first 2 shown]
.LBB0_9:
	s_load_dwordx2 s[4:5], s[4:5], 0x28
	s_lshl_b64 s[6:7], s[14:15], 3
	s_add_u32 s2, s18, s6
	s_addc_u32 s3, s19, s7
                                        ; implicit-def: $vgpr18
                                        ; implicit-def: $vgpr22
                                        ; implicit-def: $vgpr30
                                        ; implicit-def: $vgpr29
                                        ; implicit-def: $vgpr24
                                        ; implicit-def: $vgpr26
                                        ; implicit-def: $vgpr28
	s_waitcnt lgkmcnt(0)
	v_cmp_gt_u64_e64 s[0:1], s[4:5], v[20:21]
	v_cmp_le_u64_e32 vcc, s[4:5], v[20:21]
	s_and_saveexec_b64 s[4:5], vcc
	s_xor_b64 s[4:5], exec, s[4:5]
; %bb.10:
	s_mov_b32 s14, 0x2082083
	v_mul_hi_u32 v1, v0, s14
	v_mul_u32_u24_e32 v1, 0x7e, v1
	v_sub_u32_e32 v18, v0, v1
	v_add_u32_e32 v22, 0x7e, v18
	v_add_u32_e32 v30, 0xfc, v18
	;; [unrolled: 1-line block ×6, first 2 shown]
                                        ; implicit-def: $vgpr0
                                        ; implicit-def: $vgpr1_vgpr2
; %bb.11:
	s_andn2_saveexec_b64 s[4:5], s[4:5]
	s_cbranch_execz .LBB0_13
; %bb.12:
	s_add_u32 s6, s16, s6
	s_addc_u32 s7, s17, s7
	s_load_dwordx2 s[6:7], s[6:7], 0x0
	s_mov_b32 s14, 0x2082083
	v_mul_hi_u32 v5, v0, s14
	s_waitcnt lgkmcnt(0)
	v_mul_lo_u32 v6, s7, v20
	v_mul_lo_u32 v7, s6, v21
	v_mad_u64_u32 v[3:4], s[6:7], s6, v20, 0
	v_mul_u32_u24_e32 v5, 0x7e, v5
	v_sub_u32_e32 v18, v0, v5
	v_add3_u32 v4, v4, v7, v6
	v_lshlrev_b64 v[3:4], 3, v[3:4]
	v_mov_b32_e32 v0, s9
	v_add_co_u32_e32 v3, vcc, s8, v3
	v_addc_co_u32_e32 v4, vcc, v0, v4, vcc
	v_lshlrev_b64 v[0:1], 3, v[1:2]
	v_lshlrev_b32_e32 v19, 3, v18
	v_add_co_u32_e32 v0, vcc, v3, v0
	v_addc_co_u32_e32 v1, vcc, v4, v1, vcc
	v_add_co_u32_e32 v0, vcc, v0, v19
	v_addc_co_u32_e32 v1, vcc, 0, v1, vcc
	s_movk_i32 s6, 0x1000
	v_add_co_u32_e32 v10, vcc, s6, v0
	s_movk_i32 s7, 0x2000
	v_addc_co_u32_e32 v11, vcc, 0, v1, vcc
	v_add_co_u32_e32 v12, vcc, s7, v0
	v_addc_co_u32_e32 v13, vcc, 0, v1, vcc
	global_load_dwordx2 v[2:3], v[0:1], off
	global_load_dwordx2 v[4:5], v[0:1], off offset:1008
	global_load_dwordx2 v[6:7], v[0:1], off offset:2016
	;; [unrolled: 1-line block ×7, first 2 shown]
	v_add_co_u32_e32 v0, vcc, 0x3000, v0
	global_load_dwordx2 v[37:38], v[10:11], off offset:3968
	global_load_dwordx2 v[39:40], v[12:13], off offset:880
	;; [unrolled: 1-line block ×4, first 2 shown]
	v_addc_co_u32_e32 v1, vcc, 0, v1, vcc
	global_load_dwordx2 v[10:11], v[12:13], off offset:3904
	global_load_dwordx2 v[45:46], v[0:1], off offset:816
	v_add_u32_e32 v0, 0, v19
	v_add_u32_e32 v22, 0x7e, v18
	;; [unrolled: 1-line block ×12, first 2 shown]
	s_waitcnt vmcnt(12)
	ds_write2_b64 v0, v[2:3], v[4:5] offset1:126
	s_waitcnt vmcnt(10)
	ds_write2_b64 v1, v[6:7], v[8:9] offset0:124 offset1:250
	s_waitcnt vmcnt(8)
	ds_write2_b64 v12, v[14:15], v[31:32] offset0:120 offset1:246
	s_waitcnt vmcnt(6)
	ds_write2_b64 v13, v[33:34], v[35:36] offset0:116 offset1:242
	s_waitcnt vmcnt(4)
	ds_write2_b64 v19, v[37:38], v[39:40] offset0:112 offset1:238
	s_waitcnt vmcnt(2)
	ds_write2_b64 v23, v[41:42], v[43:44] offset0:108 offset1:234
	v_add_u32_e32 v0, 0x2c00, v0
	s_waitcnt vmcnt(0)
	ds_write2_b64 v0, v[10:11], v[45:46] offset0:104 offset1:230
.LBB0_13:
	s_or_b64 exec, exec, s[4:5]
	v_lshlrev_b32_e32 v19, 3, v18
	v_add_u32_e32 v25, 0, v19
	v_add_u32_e32 v4, 0x1400, v25
	s_load_dwordx2 s[2:3], s[2:3], 0x0
	s_waitcnt lgkmcnt(0)
	s_barrier
	ds_read2_b64 v[0:3], v25 offset1:126
	ds_read2_b64 v[4:7], v4 offset0:116 offset1:242
	v_add_u32_e32 v10, 0x400, v25
	v_add_u32_e32 v46, 0x2400, v25
	;; [unrolled: 1-line block ×4, first 2 shown]
	s_waitcnt lgkmcnt(0)
	v_sub_f32_e32 v14, v0, v6
	v_add_u32_e32 v6, 0x1c00, v25
	v_sub_f32_e32 v15, v1, v7
	ds_read2_b64 v[6:9], v6 offset0:112 offset1:238
	ds_read2_b64 v[10:13], v10 offset0:124 offset1:250
	;; [unrolled: 1-line block ×5, first 2 shown]
	v_fma_f32 v0, v0, 2.0, -v14
	v_fma_f32 v1, v1, 2.0, -v15
	v_add_u32_e32 v23, v25, v19
	s_waitcnt lgkmcnt(0)
	s_barrier
	ds_write2_b64 v23, v[0:1], v[14:15] offset1:1
	v_sub_f32_e32 v0, v2, v6
	v_sub_f32_e32 v1, v3, v7
	;; [unrolled: 1-line block ×4, first 2 shown]
	v_fma_f32 v2, v2, 2.0, -v0
	v_fma_f32 v3, v3, 2.0, -v1
	;; [unrolled: 1-line block ×4, first 2 shown]
	v_sub_f32_e32 v10, v12, v35
	v_sub_f32_e32 v11, v13, v36
	v_sub_f32_e32 v14, v31, v37
	v_sub_f32_e32 v15, v32, v38
	v_sub_f32_e32 v35, v33, v39
	v_sub_f32_e32 v36, v34, v40
	v_sub_f32_e32 v37, v4, v41
	v_sub_f32_e32 v38, v5, v42
	v_lshl_add_u32 v47, v22, 4, 0
	v_and_b32_e32 v56, 1, v18
	v_fma_f32 v12, v12, 2.0, -v10
	v_fma_f32 v13, v13, 2.0, -v11
	;; [unrolled: 1-line block ×8, first 2 shown]
	ds_write2_b64 v47, v[2:3], v[0:1] offset1:1
	v_lshl_add_u32 v48, v30, 4, 0
	v_lshl_add_u32 v50, v29, 4, 0
	;; [unrolled: 1-line block ×5, first 2 shown]
	v_lshlrev_b32_e32 v0, 3, v56
	ds_write2_b64 v48, v[8:9], v[6:7] offset1:1
	ds_write2_b64 v50, v[12:13], v[10:11] offset1:1
	;; [unrolled: 1-line block ×5, first 2 shown]
	s_waitcnt lgkmcnt(0)
	s_barrier
	global_load_dwordx2 v[12:13], v0, s[12:13]
	v_lshlrev_b32_e32 v52, 3, v30
	v_lshlrev_b32_e32 v49, 3, v22
	v_add_u32_e32 v61, 0x1800, v25
	v_sub_u32_e32 v58, v48, v52
	v_sub_u32_e32 v59, v47, v49
	ds_read2_b64 v[0:3], v61 offset0:114 offset1:240
	ds_read_b64 v[4:5], v25
	ds_read_b64 v[14:15], v25 offset:13104
	ds_read_b64 v[31:32], v58
	ds_read_b64 v[33:34], v59
	s_movk_i32 s4, 0xfc
	v_lshlrev_b32_e32 v62, 1, v18
	v_lshlrev_b32_e32 v57, 3, v24
	;; [unrolled: 1-line block ×4, first 2 shown]
	v_and_or_b32 v62, v62, s4, v56
	v_lshlrev_b32_e32 v55, 3, v29
	v_sub_u32_e32 v6, v54, v57
	v_add_u32_e32 v7, 0x2000, v25
	v_lshl_add_u32 v62, v62, 3, 0
	v_sub_u32_e32 v60, v50, v55
	s_movk_i32 s4, 0x1fc
	s_movk_i32 s5, 0x5fc
	s_waitcnt vmcnt(0) lgkmcnt(4)
	v_mul_f32_e32 v8, v13, v1
	v_mul_f32_e32 v9, v13, v0
	v_fma_f32 v0, v12, v0, -v8
	v_fmac_f32_e32 v9, v12, v1
	s_waitcnt lgkmcnt(3)
	v_sub_f32_e32 v0, v4, v0
	v_sub_f32_e32 v1, v5, v9
	v_fma_f32 v35, v4, 2.0, -v0
	v_fma_f32 v36, v5, 2.0, -v1
	v_add_u32_e32 v8, 0x2800, v25
	v_sub_u32_e32 v4, v45, v23
	v_sub_u32_e32 v5, v27, v51
	ds_read_b64 v[37:38], v4
	ds_read_b64 v[39:40], v5
	;; [unrolled: 1-line block ×4, first 2 shown]
	ds_read2_b64 v[4:7], v7 offset0:110 offset1:236
	ds_read2_b64 v[8:11], v8 offset0:106 offset1:232
	s_waitcnt lgkmcnt(0)
	s_barrier
	ds_write2_b64 v62, v[35:36], v[0:1] offset1:2
	v_mul_f32_e32 v0, v13, v3
	v_fma_f32 v0, v12, v2, -v0
	v_mul_f32_e32 v1, v13, v2
	v_sub_f32_e32 v0, v33, v0
	v_fmac_f32_e32 v1, v12, v3
	v_fma_f32 v2, v33, 2.0, -v0
	v_lshlrev_b32_e32 v33, 1, v22
	v_sub_f32_e32 v1, v34, v1
	v_and_or_b32 v33, v33, s4, v56
	v_fma_f32 v3, v34, 2.0, -v1
	v_lshl_add_u32 v33, v33, 3, 0
	ds_write2_b64 v33, v[2:3], v[0:1] offset1:2
	v_mul_f32_e32 v0, v13, v5
	v_mul_f32_e32 v1, v13, v4
	v_fma_f32 v0, v12, v4, -v0
	v_fmac_f32_e32 v1, v12, v5
	s_movk_i32 s4, 0x3fc
	v_lshlrev_b32_e32 v4, 1, v30
	v_sub_f32_e32 v0, v31, v0
	v_sub_f32_e32 v1, v32, v1
	v_and_or_b32 v4, v4, s4, v56
	v_fma_f32 v2, v31, 2.0, -v0
	v_fma_f32 v3, v32, 2.0, -v1
	v_lshl_add_u32 v4, v4, 3, 0
	ds_write2_b64 v4, v[2:3], v[0:1] offset1:2
	v_mul_f32_e32 v0, v13, v7
	v_mul_f32_e32 v1, v13, v6
	v_fma_f32 v0, v12, v6, -v0
	v_fmac_f32_e32 v1, v12, v7
	v_lshlrev_b32_e32 v4, 1, v29
	v_sub_f32_e32 v0, v43, v0
	v_sub_f32_e32 v1, v44, v1
	v_and_or_b32 v4, v4, s4, v56
	v_fma_f32 v2, v43, 2.0, -v0
	v_fma_f32 v3, v44, 2.0, -v1
	v_lshl_add_u32 v4, v4, 3, 0
	ds_write2_b64 v4, v[2:3], v[0:1] offset1:2
	v_mul_f32_e32 v0, v13, v9
	v_mul_f32_e32 v1, v13, v8
	v_fma_f32 v0, v12, v8, -v0
	v_fmac_f32_e32 v1, v12, v9
	s_movk_i32 s4, 0x7fc
	v_lshlrev_b32_e32 v4, 1, v24
	v_sub_f32_e32 v0, v41, v0
	v_sub_f32_e32 v1, v42, v1
	v_and_or_b32 v4, v4, s4, v56
	v_fma_f32 v2, v41, 2.0, -v0
	v_fma_f32 v3, v42, 2.0, -v1
	v_lshl_add_u32 v4, v4, 3, 0
	ds_write2_b64 v4, v[2:3], v[0:1] offset1:2
	v_mul_f32_e32 v0, v13, v11
	v_mul_f32_e32 v1, v13, v10
	v_fma_f32 v0, v12, v10, -v0
	v_fmac_f32_e32 v1, v12, v11
	v_lshlrev_b32_e32 v4, 1, v26
	v_sub_f32_e32 v0, v37, v0
	v_sub_f32_e32 v1, v38, v1
	v_and_or_b32 v4, v4, s5, v56
	v_fma_f32 v2, v37, 2.0, -v0
	v_fma_f32 v3, v38, 2.0, -v1
	v_lshl_add_u32 v4, v4, 3, 0
	ds_write2_b64 v4, v[2:3], v[0:1] offset1:2
	v_mul_f32_e32 v0, v13, v15
	v_fma_f32 v0, v12, v14, -v0
	v_mul_f32_e32 v1, v12, v15
	v_fmac_f32_e32 v1, v13, v14
	v_sub_f32_e32 v33, v39, v0
	v_lshlrev_b32_e32 v0, 1, v28
	v_sub_f32_e32 v34, v40, v1
	v_and_or_b32 v0, v0, s4, v56
	v_fma_f32 v31, v39, 2.0, -v33
	v_fma_f32 v32, v40, 2.0, -v34
	v_lshl_add_u32 v0, v0, 3, 0
	ds_write2_b64 v0, v[31:32], v[33:34] offset1:2
	v_add_u32_e32 v0, 0x1000, v25
	s_waitcnt lgkmcnt(0)
	s_barrier
	ds_read_b64 v[39:40], v58
	ds_read_b64 v[37:38], v60
	;; [unrolled: 1-line block ×4, first 2 shown]
	ds_read2_b64 v[12:15], v0 offset0:76 offset1:202
	ds_read2_b64 v[8:11], v46 offset0:24 offset1:150
	;; [unrolled: 1-line block ×4, first 2 shown]
	v_sub_u32_e32 v35, 0, v57
	s_movk_i32 s4, 0x54
	v_add_u32_e32 v46, v54, v35
	v_cmp_gt_u32_e32 vcc, s4, v18
                                        ; implicit-def: $vgpr36
	s_and_saveexec_b64 s[4:5], vcc
	s_cbranch_execz .LBB0_15
; %bb.14:
	ds_read_b64 v[33:34], v25 offset:8736
	ds_read_b64 v[31:32], v46
	ds_read_b64 v[35:36], v25 offset:13440
.LBB0_15:
	s_or_b64 exec, exec, s[4:5]
	v_and_b32_e32 v54, 3, v18
	v_lshlrev_b32_e32 v53, 4, v54
	v_and_b32_e32 v68, 3, v22
	global_load_dwordx4 v[56:59], v53, s[12:13] offset:16
	v_lshlrev_b32_e32 v53, 4, v68
	v_and_b32_e32 v69, 3, v29
	global_load_dwordx4 v[60:63], v53, s[12:13] offset:16
	v_lshlrev_b32_e32 v53, 4, v69
	global_load_dwordx4 v[64:67], v53, s[12:13] offset:16
	v_sub_u32_e32 v53, 0, v52
	v_sub_u32_e32 v52, 0, v55
	s_waitcnt vmcnt(0) lgkmcnt(0)
	s_barrier
	v_sub_u32_e32 v49, 0, v49
	v_mul_f32_e32 v55, v57, v13
	v_mul_f32_e32 v70, v57, v12
	;; [unrolled: 1-line block ×13, first 2 shown]
	v_fma_f32 v12, v56, v12, -v55
	v_fmac_f32_e32 v70, v56, v13
	v_fma_f32 v8, v58, v8, -v72
	v_fmac_f32_e32 v73, v58, v9
	v_mul_f32_e32 v76, v57, v4
	v_mul_f32_e32 v79, v65, v7
	;; [unrolled: 1-line block ×6, first 2 shown]
	v_fma_f32 v13, v60, v14, -v71
	v_fmac_f32_e32 v61, v60, v15
	v_fma_f32 v10, v62, v10, -v74
	v_fmac_f32_e32 v63, v62, v11
	v_fma_f32 v11, v56, v4, -v75
	v_fma_f32 v14, v58, v0, -v77
	v_fmac_f32_e32 v78, v58, v1
	v_fmac_f32_e32 v67, v66, v3
	v_add_f32_e32 v1, v12, v8
	v_add_f32_e32 v3, v70, v73
	v_mul_f32_e32 v59, v35, v59
	v_fmac_f32_e32 v76, v56, v5
	v_fma_f32 v15, v64, v6, -v79
	v_fmac_f32_e32 v65, v64, v7
	v_fma_f32 v55, v66, v2, -v80
	v_fma_f32 v60, v33, v56, -v81
	v_fmac_f32_e32 v57, v34, v56
	v_fma_f32 v56, v35, v58, -v82
	v_add_f32_e32 v0, v43, v12
	v_add_f32_e32 v2, v44, v70
	;; [unrolled: 1-line block ×5, first 2 shown]
	v_fma_f32 v43, -0.5, v1, v43
	v_fmac_f32_e32 v44, -0.5, v3
	v_sub_f32_e32 v5, v70, v73
	v_sub_f32_e32 v12, v12, v8
	v_add_f32_e32 v4, v41, v13
	v_add_f32_e32 v9, v61, v63
	v_add_f32_e32 v34, v39, v11
	v_fma_f32 v41, -0.5, v6, v41
	v_add_f32_e32 v3, v7, v63
	v_fma_f32 v39, -0.5, v35, v39
	v_mov_b32_e32 v6, v43
	v_mov_b32_e32 v7, v44
	v_sub_f32_e32 v13, v13, v10
	v_add_f32_e32 v1, v2, v73
	v_add_f32_e32 v2, v4, v10
	v_fmac_f32_e32 v42, -0.5, v9
	v_fmac_f32_e32 v43, 0xbf5db3d7, v5
	v_fmac_f32_e32 v44, 0x3f5db3d7, v12
	;; [unrolled: 1-line block ×4, first 2 shown]
	v_sub_f32_e32 v5, v76, v78
	v_mov_b32_e32 v10, v39
	v_add_f32_e32 v12, v76, v78
	v_mov_b32_e32 v9, v42
	v_fmac_f32_e32 v10, 0x3f5db3d7, v5
	v_fmac_f32_e32 v39, 0xbf5db3d7, v5
	v_add_f32_e32 v5, v40, v76
	v_fmac_f32_e32 v40, -0.5, v12
	v_fmac_f32_e32 v42, 0x3f5db3d7, v13
	v_fmac_f32_e32 v9, 0xbf5db3d7, v13
	v_sub_f32_e32 v12, v11, v14
	v_mov_b32_e32 v11, v40
	v_add_f32_e32 v13, v15, v55
	v_sub_f32_e32 v33, v61, v63
	v_add_f32_e32 v0, v0, v8
	v_mov_b32_e32 v8, v41
	v_fmac_f32_e32 v11, 0xbf5db3d7, v12
	v_fmac_f32_e32 v40, 0x3f5db3d7, v12
	v_add_f32_e32 v12, v37, v15
	v_fma_f32 v37, -0.5, v13, v37
	v_add_f32_e32 v4, v34, v14
	v_fmac_f32_e32 v41, 0xbf5db3d7, v33
	v_fmac_f32_e32 v8, 0x3f5db3d7, v33
	v_sub_f32_e32 v13, v65, v67
	v_mov_b32_e32 v14, v37
	v_add_f32_e32 v33, v65, v67
	v_fmac_f32_e32 v14, 0x3f5db3d7, v13
	v_fmac_f32_e32 v37, 0xbf5db3d7, v13
	v_add_f32_e32 v13, v38, v65
	v_fmac_f32_e32 v38, -0.5, v33
	v_sub_f32_e32 v33, v15, v55
	v_mov_b32_e32 v15, v38
	v_add_f32_e32 v34, v60, v56
	v_fmac_f32_e32 v59, v36, v58
	v_fmac_f32_e32 v15, 0xbf5db3d7, v33
	;; [unrolled: 1-line block ×3, first 2 shown]
	v_add_f32_e32 v33, v31, v60
	v_fmac_f32_e32 v31, -0.5, v34
	v_sub_f32_e32 v34, v57, v59
	v_mov_b32_e32 v35, v31
	v_add_f32_e32 v36, v57, v59
	v_fmac_f32_e32 v35, 0x3f5db3d7, v34
	v_fmac_f32_e32 v31, 0xbf5db3d7, v34
	v_add_f32_e32 v34, v32, v57
	v_fmac_f32_e32 v32, -0.5, v36
	v_add_f32_e32 v12, v12, v55
	v_sub_f32_e32 v55, v60, v56
	v_mov_b32_e32 v36, v32
	v_fmac_f32_e32 v36, 0xbf5db3d7, v55
	v_fmac_f32_e32 v32, 0x3f5db3d7, v55
	v_lshrrev_b32_e32 v55, 2, v18
	v_mul_u32_u24_e32 v55, 12, v55
	v_add_f32_e32 v33, v33, v56
	v_or_b32_e32 v55, v55, v54
	v_lshrrev_b32_e32 v56, 2, v22
	v_mul_lo_u32 v56, v56, 12
	v_lshl_add_u32 v55, v55, 3, 0
	ds_write2_b64 v55, v[0:1], v[6:7] offset1:4
	ds_write_b64 v55, v[43:44] offset:64
	v_lshrrev_b32_e32 v1, 2, v30
	v_mul_lo_u32 v1, v1, 12
	v_or_b32_e32 v0, v56, v68
	v_lshl_add_u32 v0, v0, 3, 0
	ds_write2_b64 v0, v[2:3], v[8:9] offset1:4
	ds_write_b64 v0, v[41:42] offset:64
	v_or_b32_e32 v0, v1, v54
	v_lshrrev_b32_e32 v1, 2, v29
	v_mul_lo_u32 v1, v1, 12
	v_add_f32_e32 v5, v5, v78
	v_lshl_add_u32 v0, v0, 3, 0
	ds_write2_b64 v0, v[4:5], v[10:11] offset1:4
	ds_write_b64 v0, v[39:40] offset:64
	v_or_b32_e32 v0, v1, v69
	v_add_f32_e32 v13, v13, v67
	v_add_f32_e32 v34, v34, v59
	v_lshl_add_u32 v0, v0, 3, 0
	ds_write2_b64 v0, v[12:13], v[14:15] offset1:4
	ds_write_b64 v0, v[37:38] offset:64
	s_and_saveexec_b64 s[4:5], vcc
	s_cbranch_execz .LBB0_17
; %bb.16:
	v_lshrrev_b32_e32 v0, 2, v24
	v_mul_lo_u32 v0, v0, 12
	v_or_b32_e32 v0, v0, v54
	v_lshl_add_u32 v0, v0, 3, 0
	ds_write2_b64 v0, v[33:34], v[35:36] offset1:4
	ds_write_b64 v0, v[31:32] offset:64
.LBB0_17:
	s_or_b64 exec, exec, s[4:5]
	v_add_u32_e32 v0, 0x1000, v25
	v_add_u32_e32 v4, 0x2400, v25
	;; [unrolled: 1-line block ×4, first 2 shown]
	s_waitcnt lgkmcnt(0)
	s_barrier
	ds_read2_b64 v[0:3], v0 offset0:76 offset1:202
	ds_read2_b64 v[4:7], v4 offset0:24 offset1:150
	v_add_u32_e32 v49, v47, v49
	v_add_u32_e32 v48, v48, v53
	ds_read2_b64 v[8:11], v8 offset0:72 offset1:198
	ds_read2_b64 v[12:15], v12 offset0:20 offset1:146
	v_add_u32_e32 v47, v50, v52
	ds_read_b64 v[43:44], v25
	ds_read_b64 v[41:42], v49
	;; [unrolled: 1-line block ×4, first 2 shown]
	s_and_saveexec_b64 s[4:5], vcc
	s_cbranch_execz .LBB0_19
; %bb.18:
	ds_read_b64 v[35:36], v25 offset:8736
	ds_read_b64 v[33:34], v46
	ds_read_b64 v[31:32], v25 offset:13440
.LBB0_19:
	s_or_b64 exec, exec, s[4:5]
	s_movk_i32 s4, 0xab
	v_mul_lo_u16_sdwa v50, v18, s4 dst_sel:DWORD dst_unused:UNUSED_PAD src0_sel:BYTE_0 src1_sel:DWORD
	v_mul_lo_u16_sdwa v52, v22, s4 dst_sel:DWORD dst_unused:UNUSED_PAD src0_sel:BYTE_0 src1_sel:DWORD
	v_lshrrev_b16_e32 v68, 11, v50
	v_lshrrev_b16_e32 v70, 11, v52
	v_mul_lo_u16_e32 v50, 12, v68
	v_mul_lo_u16_e32 v52, 12, v70
	v_sub_u16_e32 v69, v18, v50
	v_mov_b32_e32 v50, 4
	v_sub_u16_e32 v71, v22, v52
	v_lshlrev_b32_sdwa v60, v50, v69 dst_sel:DWORD dst_unused:UNUSED_PAD src0_sel:DWORD src1_sel:BYTE_0
	v_lshlrev_b32_sdwa v50, v50, v71 dst_sel:DWORD dst_unused:UNUSED_PAD src0_sel:DWORD src1_sel:BYTE_0
	s_mov_b32 s6, 0xaaab
	global_load_dwordx4 v[52:55], v60, s[12:13] offset:80
	global_load_dwordx4 v[56:59], v50, s[12:13] offset:80
	v_mul_u32_u24_sdwa v50, v30, s6 dst_sel:DWORD dst_unused:UNUSED_PAD src0_sel:WORD_0 src1_sel:DWORD
	v_lshrrev_b32_e32 v72, 19, v50
	v_mul_lo_u16_e32 v50, 12, v72
	v_sub_u16_e32 v73, v30, v50
	v_mul_u32_u24_sdwa v60, v29, s6 dst_sel:DWORD dst_unused:UNUSED_PAD src0_sel:WORD_0 src1_sel:DWORD
	v_lshlrev_b32_e32 v50, 4, v73
	v_lshrrev_b32_e32 v74, 19, v60
	global_load_dwordx4 v[60:63], v50, s[12:13] offset:80
	v_mul_lo_u16_e32 v50, 12, v74
	v_sub_u16_e32 v75, v29, v50
	v_lshlrev_b32_e32 v50, 4, v75
	global_load_dwordx4 v[64:67], v50, s[12:13] offset:80
	v_sub_u32_e32 v50, 0, v51
	s_waitcnt vmcnt(0) lgkmcnt(0)
	s_barrier
	v_mul_f32_e32 v51, v53, v1
	v_mul_f32_e32 v53, v53, v0
	;; [unrolled: 1-line block ×6, first 2 shown]
	v_fmac_f32_e32 v53, v52, v1
	v_fmac_f32_e32 v55, v54, v5
	v_mul_f32_e32 v77, v57, v3
	v_mul_f32_e32 v57, v57, v2
	v_fma_f32 v0, v52, v0, -v51
	v_fma_f32 v1, v54, v4, -v76
	v_fmac_f32_e32 v59, v58, v7
	v_add_f32_e32 v7, v53, v55
	v_mul_f32_e32 v79, v61, v9
	v_mul_f32_e32 v81, v65, v11
	;; [unrolled: 1-line block ×4, first 2 shown]
	v_fma_f32 v2, v56, v2, -v77
	v_fmac_f32_e32 v57, v56, v3
	v_fma_f32 v3, v58, v6, -v78
	v_add_f32_e32 v5, v0, v1
	v_add_f32_e32 v6, v44, v53
	v_fmac_f32_e32 v44, -0.5, v7
	v_mul_f32_e32 v61, v61, v8
	v_mul_f32_e32 v80, v63, v13
	;; [unrolled: 1-line block ×3, first 2 shown]
	v_fma_f32 v51, v60, v8, -v79
	v_fma_f32 v52, v64, v10, -v81
	v_fmac_f32_e32 v67, v15, v66
	v_add_f32_e32 v4, v43, v0
	v_sub_f32_e32 v0, v0, v1
	v_add_f32_e32 v8, v41, v2
	v_add_f32_e32 v10, v2, v3
	v_sub_f32_e32 v15, v2, v3
	v_fma_f32 v43, -0.5, v5, v43
	v_add_f32_e32 v2, v6, v55
	v_mov_b32_e32 v6, v44
	v_mul_f32_e32 v63, v63, v12
	v_fmac_f32_e32 v61, v60, v9
	v_fma_f32 v12, v62, v12, -v80
	v_sub_f32_e32 v9, v53, v55
	v_mov_b32_e32 v5, v43
	v_fmac_f32_e32 v44, 0x3f5db3d7, v0
	v_fmac_f32_e32 v6, 0xbf5db3d7, v0
	v_add_f32_e32 v0, v39, v51
	v_fma_f32 v41, -0.5, v10, v41
	v_fmac_f32_e32 v43, 0xbf5db3d7, v9
	v_fmac_f32_e32 v5, 0x3f5db3d7, v9
	v_add_f32_e32 v9, v0, v12
	v_add_f32_e32 v0, v51, v12
	v_fmac_f32_e32 v63, v62, v13
	v_fmac_f32_e32 v65, v64, v11
	v_sub_f32_e32 v11, v57, v59
	v_mov_b32_e32 v7, v41
	v_fma_f32 v39, -0.5, v0, v39
	v_fmac_f32_e32 v41, 0xbf5db3d7, v11
	v_fmac_f32_e32 v7, 0x3f5db3d7, v11
	v_sub_f32_e32 v0, v61, v63
	v_mov_b32_e32 v11, v39
	v_fmac_f32_e32 v11, 0x3f5db3d7, v0
	v_fmac_f32_e32 v39, 0xbf5db3d7, v0
	v_add_f32_e32 v0, v40, v61
	v_add_f32_e32 v10, v0, v63
	v_add_f32_e32 v0, v61, v63
	v_fmac_f32_e32 v40, -0.5, v0
	v_sub_f32_e32 v0, v51, v12
	v_mov_b32_e32 v12, v40
	v_fma_f32 v54, v14, v66, -v82
	v_add_f32_e32 v13, v42, v57
	v_fmac_f32_e32 v12, 0xbf5db3d7, v0
	v_fmac_f32_e32 v40, 0x3f5db3d7, v0
	v_add_f32_e32 v0, v37, v52
	v_add_f32_e32 v1, v4, v1
	;; [unrolled: 1-line block ×5, first 2 shown]
	v_fma_f32 v37, -0.5, v0, v37
	v_sub_f32_e32 v0, v65, v67
	v_mov_b32_e32 v51, v37
	v_add_f32_e32 v14, v57, v59
	v_fmac_f32_e32 v51, 0x3f5db3d7, v0
	v_fmac_f32_e32 v37, 0xbf5db3d7, v0
	v_add_f32_e32 v0, v38, v65
	v_fmac_f32_e32 v42, -0.5, v14
	v_add_f32_e32 v14, v0, v67
	v_add_f32_e32 v0, v65, v67
	v_fmac_f32_e32 v38, -0.5, v0
	v_sub_f32_e32 v0, v52, v54
	v_mov_b32_e32 v52, v38
	v_add_f32_e32 v3, v8, v3
	v_mov_b32_e32 v8, v42
	v_fmac_f32_e32 v52, 0xbf5db3d7, v0
	v_fmac_f32_e32 v38, 0x3f5db3d7, v0
	v_mov_b32_e32 v0, 3
	v_fmac_f32_e32 v42, 0x3f5db3d7, v15
	v_fmac_f32_e32 v8, 0xbf5db3d7, v15
	v_mul_u32_u24_e32 v15, 0x120, v68
	v_lshlrev_b32_sdwa v53, v0, v69 dst_sel:DWORD dst_unused:UNUSED_PAD src0_sel:DWORD src1_sel:BYTE_0
	v_add3_u32 v15, 0, v15, v53
	ds_write2_b64 v15, v[1:2], v[5:6] offset1:12
	ds_write_b64 v15, v[43:44] offset:192
	v_mul_u32_u24_e32 v1, 0x120, v70
	v_lshlrev_b32_sdwa v2, v0, v71 dst_sel:DWORD dst_unused:UNUSED_PAD src0_sel:DWORD src1_sel:BYTE_0
	v_add3_u32 v1, 0, v1, v2
	ds_write2_b64 v1, v[3:4], v[7:8] offset1:12
	ds_write_b64 v1, v[41:42] offset:192
	v_mul_u32_u24_e32 v1, 0x120, v72
	v_lshlrev_b32_e32 v2, 3, v73
	v_add3_u32 v1, 0, v1, v2
	ds_write2_b64 v1, v[9:10], v[11:12] offset1:12
	ds_write_b64 v1, v[39:40] offset:192
	v_mul_u32_u24_e32 v1, 0x120, v74
	v_lshlrev_b32_e32 v2, 3, v75
	v_add3_u32 v1, 0, v1, v2
	ds_write2_b64 v1, v[13:14], v[51:52] offset1:12
	ds_write_b64 v1, v[37:38] offset:192
	s_and_saveexec_b64 s[4:5], vcc
	s_cbranch_execz .LBB0_21
; %bb.20:
	v_mul_u32_u24_sdwa v1, v24, s6 dst_sel:DWORD dst_unused:UNUSED_PAD src0_sel:WORD_0 src1_sel:DWORD
	v_lshrrev_b32_e32 v5, 19, v1
	v_mul_lo_u16_e32 v1, 12, v5
	v_sub_u16_e32 v6, v24, v1
	v_lshlrev_b32_e32 v1, 4, v6
	global_load_dwordx4 v[1:4], v1, s[12:13] offset:80
	v_mul_lo_u16_e32 v5, 36, v5
	v_lshlrev_b32_e32 v5, 3, v5
	v_lshlrev_b32_e32 v6, 3, v6
	v_add3_u32 v5, 0, v6, v5
	s_waitcnt vmcnt(0)
	v_mul_f32_e32 v6, v31, v4
	v_mul_f32_e32 v7, v35, v2
	;; [unrolled: 1-line block ×4, first 2 shown]
	v_fmac_f32_e32 v6, v32, v3
	v_fmac_f32_e32 v7, v36, v1
	v_fma_f32 v1, v35, v1, -v2
	v_fma_f32 v3, v31, v3, -v4
	v_add_f32_e32 v9, v7, v6
	v_add_f32_e32 v10, v1, v3
	;; [unrolled: 1-line block ×4, first 2 shown]
	v_sub_f32_e32 v8, v1, v3
	v_sub_f32_e32 v7, v7, v6
	v_fmac_f32_e32 v34, -0.5, v9
	v_fmac_f32_e32 v33, -0.5, v10
	v_add_f32_e32 v2, v2, v6
	v_add_f32_e32 v1, v4, v3
	v_mov_b32_e32 v4, v34
	v_fmac_f32_e32 v34, 0xbf5db3d7, v8
	v_mov_b32_e32 v3, v33
	v_fmac_f32_e32 v33, 0x3f5db3d7, v7
	v_fmac_f32_e32 v4, 0x3f5db3d7, v8
	;; [unrolled: 1-line block ×3, first 2 shown]
	ds_write2_b64 v5, v[1:2], v[33:34] offset1:12
	ds_write_b64 v5, v[3:4] offset:192
.LBB0_21:
	s_or_b64 exec, exec, s[4:5]
	v_add_u32_e32 v4, v27, v50
	v_mov_b32_e32 v27, 57
	v_mul_lo_u16_sdwa v39, v18, v27 dst_sel:DWORD dst_unused:UNUSED_PAD src0_sel:BYTE_0 src1_sel:DWORD
	v_lshrrev_b16_e32 v66, 11, v39
	v_mul_lo_u16_e32 v39, 36, v66
	v_sub_u16_e32 v67, v18, v39
	v_mov_b32_e32 v68, 6
	v_mul_u32_u24_sdwa v39, v67, v68 dst_sel:DWORD dst_unused:UNUSED_PAD src0_sel:BYTE_0 src1_sel:DWORD
	v_add_u32_e32 v1, 0x1800, v25
	v_add_u32_e32 v2, 0x2000, v25
	;; [unrolled: 1-line block ×4, first 2 shown]
	v_lshlrev_b32_e32 v69, 3, v39
	s_waitcnt lgkmcnt(0)
	s_barrier
	ds_read_b64 v[43:44], v25
	ds_read_b64 v[14:15], v48
	;; [unrolled: 1-line block ×4, first 2 shown]
	ds_read2_b64 v[6:9], v1 offset0:114 offset1:240
	ds_read2_b64 v[10:13], v2 offset0:110 offset1:236
	;; [unrolled: 1-line block ×3, first 2 shown]
	ds_read_b64 v[62:63], v49
	ds_read2_b64 v[35:38], v5 offset0:2 offset1:254
	ds_read_b64 v[64:65], v25 offset:13104
	global_load_dwordx4 v[39:42], v69, s[12:13] offset:304
	global_load_dwordx4 v[50:53], v69, s[12:13] offset:288
	;; [unrolled: 1-line block ×3, first 2 shown]
	s_mov_b32 s4, 0x3f5ff5aa
	s_mov_b32 s6, 0x3f3bfb3b
	;; [unrolled: 1-line block ×4, first 2 shown]
	s_waitcnt vmcnt(0) lgkmcnt(8)
	v_mul_f32_e32 v69, v55, v15
	v_fma_f32 v69, v54, v14, -v69
	v_mul_f32_e32 v55, v55, v14
	s_waitcnt lgkmcnt(7)
	v_mul_f32_e32 v14, v57, v59
	v_fmac_f32_e32 v55, v54, v15
	v_fma_f32 v54, v56, v58, -v14
	v_mul_f32_e32 v57, v57, v58
	s_waitcnt lgkmcnt(6)
	v_mul_f32_e32 v14, v51, v61
	v_fmac_f32_e32 v57, v56, v59
	v_fma_f32 v56, v50, v60, -v14
	s_waitcnt lgkmcnt(5)
	v_mul_f32_e32 v14, v53, v9
	v_fma_f32 v59, v52, v8, -v14
	v_mul_f32_e32 v8, v53, v8
	v_fmac_f32_e32 v8, v52, v9
	s_waitcnt lgkmcnt(4)
	v_mul_f32_e32 v9, v40, v13
	v_mul_f32_e32 v58, v51, v60
	v_fma_f32 v9, v39, v12, -v9
	v_mul_f32_e32 v60, v40, v12
	s_waitcnt lgkmcnt(3)
	v_mul_f32_e32 v12, v34, v42
	v_fmac_f32_e32 v58, v50, v61
	v_fma_f32 v61, v33, v41, -v12
	v_mul_lo_u16_sdwa v12, v22, v27 dst_sel:DWORD dst_unused:UNUSED_PAD src0_sel:BYTE_0 src1_sel:DWORD
	v_lshrrev_b16_e32 v27, 11, v12
	v_mul_lo_u16_e32 v12, 36, v27
	v_sub_u16_e32 v70, v22, v12
	v_mul_f32_e32 v33, v33, v42
	v_mul_u32_u24_sdwa v12, v70, v68 dst_sel:DWORD dst_unused:UNUSED_PAD src0_sel:BYTE_0 src1_sel:DWORD
	v_fmac_f32_e32 v33, v34, v41
	v_lshlrev_b32_e32 v34, 3, v12
	v_fmac_f32_e32 v60, v39, v13
	global_load_dwordx4 v[12:15], v34, s[12:13] offset:304
	global_load_dwordx4 v[39:42], v34, s[12:13] offset:288
	;; [unrolled: 1-line block ×3, first 2 shown]
	s_waitcnt vmcnt(0) lgkmcnt(0)
	s_barrier
	v_mul_f32_e32 v34, v36, v51
	v_fma_f32 v68, v35, v50, -v34
	v_mul_f32_e32 v35, v35, v51
	v_mul_f32_e32 v34, v38, v53
	v_fmac_f32_e32 v35, v36, v50
	v_fma_f32 v36, v37, v52, -v34
	v_mul_f32_e32 v37, v37, v53
	v_mul_f32_e32 v34, v7, v40
	v_fmac_f32_e32 v37, v38, v52
	v_fma_f32 v38, v6, v39, -v34
	v_mul_f32_e32 v40, v6, v40
	v_mul_f32_e32 v6, v11, v42
	v_fmac_f32_e32 v40, v7, v39
	v_fma_f32 v39, v10, v41, -v6
	v_mul_f32_e32 v42, v10, v42
	v_mul_f32_e32 v6, v32, v13
	v_fmac_f32_e32 v42, v11, v41
	v_fma_f32 v41, v31, v12, -v6
	v_mul_f32_e32 v50, v31, v13
	v_mul_f32_e32 v6, v65, v15
	v_fmac_f32_e32 v50, v32, v12
	v_fma_f32 v51, v64, v14, -v6
	v_add_f32_e32 v6, v69, v61
	v_add_f32_e32 v12, v54, v9
	v_mul_f32_e32 v52, v64, v15
	v_add_f32_e32 v7, v55, v33
	v_sub_f32_e32 v11, v55, v33
	v_add_f32_e32 v13, v57, v60
	v_sub_f32_e32 v9, v54, v9
	;; [unrolled: 2-line block ×3, first 2 shown]
	v_add_f32_e32 v33, v12, v6
	v_fmac_f32_e32 v52, v65, v14
	v_sub_f32_e32 v10, v69, v61
	v_sub_f32_e32 v14, v57, v60
	v_add_f32_e32 v31, v58, v8
	v_sub_f32_e32 v8, v8, v58
	v_add_f32_e32 v34, v13, v7
	v_sub_f32_e32 v53, v12, v6
	v_sub_f32_e32 v55, v6, v15
	;; [unrolled: 1-line block ×3, first 2 shown]
	v_add_f32_e32 v6, v32, v9
	v_add_f32_e32 v15, v15, v33
	v_sub_f32_e32 v54, v13, v7
	v_sub_f32_e32 v56, v7, v31
	;; [unrolled: 1-line block ×3, first 2 shown]
	v_add_f32_e32 v7, v8, v14
	v_sub_f32_e32 v57, v32, v9
	v_sub_f32_e32 v32, v10, v32
	;; [unrolled: 1-line block ×3, first 2 shown]
	v_add_f32_e32 v31, v31, v34
	v_add_f32_e32 v10, v6, v10
	v_add_f32_e32 v6, v15, v43
	v_sub_f32_e32 v58, v8, v14
	v_sub_f32_e32 v8, v11, v8
	;; [unrolled: 1-line block ×3, first 2 shown]
	v_add_f32_e32 v11, v7, v11
	v_add_f32_e32 v7, v31, v44
	v_mov_b32_e32 v59, v6
	v_mul_f32_e32 v33, 0x3f4a47b2, v55
	v_mul_f32_e32 v34, 0x3f4a47b2, v56
	;; [unrolled: 1-line block ×7, first 2 shown]
	v_fmac_f32_e32 v59, 0xbf955555, v15
	v_mov_b32_e32 v15, v7
	v_mul_f32_e32 v57, 0x3f5ff5aa, v9
	v_fmac_f32_e32 v15, 0xbf955555, v31
	v_fma_f32 v31, v53, s6, -v43
	v_fma_f32 v43, v54, s6, -v44
	;; [unrolled: 1-line block ×3, first 2 shown]
	v_fmac_f32_e32 v33, 0x3d64c772, v12
	v_fma_f32 v12, v54, s5, -v34
	v_fma_f32 v53, v9, s4, -v55
	;; [unrolled: 1-line block ×4, first 2 shown]
	v_fmac_f32_e32 v34, 0x3d64c772, v13
	v_fmac_f32_e32 v55, 0x3eae86e6, v32
	v_fma_f32 v32, v32, s7, -v57
	v_add_f32_e32 v31, v31, v59
	v_add_f32_e32 v43, v43, v15
	;; [unrolled: 1-line block ×3, first 2 shown]
	v_fmac_f32_e32 v53, 0x3ee1c552, v10
	v_fmac_f32_e32 v14, 0x3ee1c552, v11
	;; [unrolled: 1-line block ×3, first 2 shown]
	v_add_f32_e32 v34, v34, v15
	v_add_f32_e32 v57, v12, v15
	v_fmac_f32_e32 v55, 0x3ee1c552, v10
	v_fmac_f32_e32 v32, 0x3ee1c552, v10
	v_add_f32_e32 v10, v54, v44
	v_sub_f32_e32 v12, v31, v14
	v_add_f32_e32 v13, v53, v43
	v_add_f32_e32 v14, v14, v31
	v_sub_f32_e32 v15, v43, v53
	v_sub_f32_e32 v31, v44, v54
	v_add_f32_e32 v43, v68, v51
	v_add_f32_e32 v44, v35, v52
	v_sub_f32_e32 v35, v35, v52
	v_add_f32_e32 v52, v36, v41
	v_fmac_f32_e32 v56, 0x3eae86e6, v8
	v_add_f32_e32 v53, v37, v50
	v_sub_f32_e32 v36, v36, v41
	v_sub_f32_e32 v37, v37, v50
	v_add_f32_e32 v41, v38, v39
	v_add_f32_e32 v50, v40, v42
	v_sub_f32_e32 v38, v39, v38
	v_sub_f32_e32 v39, v42, v40
	v_add_f32_e32 v40, v52, v43
	v_fmac_f32_e32 v56, 0x3ee1c552, v11
	v_sub_f32_e32 v11, v57, v32
	v_add_f32_e32 v32, v32, v57
	v_add_f32_e32 v42, v53, v44
	;; [unrolled: 1-line block ×5, first 2 shown]
	v_sub_f32_e32 v9, v34, v55
	v_add_f32_e32 v34, v55, v34
	v_sub_f32_e32 v51, v68, v51
	v_sub_f32_e32 v54, v52, v43
	;; [unrolled: 1-line block ×10, first 2 shown]
	v_add_f32_e32 v41, v50, v42
	v_add_f32_e32 v50, v57, v35
	;; [unrolled: 1-line block ×4, first 2 shown]
	v_sub_f32_e32 v33, v33, v56
	v_add_f32_e32 v56, v38, v36
	v_sub_f32_e32 v58, v38, v36
	v_sub_f32_e32 v60, v36, v51
	v_add_f32_e32 v36, v41, v63
	v_mov_b32_e32 v62, v35
	v_sub_f32_e32 v38, v51, v38
	v_add_f32_e32 v42, v56, v51
	v_mul_f32_e32 v43, 0x3f4a47b2, v43
	v_mul_f32_e32 v44, 0x3f4a47b2, v44
	;; [unrolled: 1-line block ×6, first 2 shown]
	v_fmac_f32_e32 v62, 0xbf955555, v40
	v_mov_b32_e32 v40, v36
	v_fmac_f32_e32 v40, 0xbf955555, v41
	v_fma_f32 v41, v54, s6, -v51
	v_fma_f32 v51, v55, s6, -v56
	;; [unrolled: 1-line block ×3, first 2 shown]
	v_fmac_f32_e32 v43, 0x3d64c772, v52
	v_fma_f32 v52, v55, s5, -v44
	v_fma_f32 v55, v37, s4, -v58
	v_mul_f32_e32 v59, 0x3f5ff5aa, v60
	v_mul_f32_e32 v61, 0x3f5ff5aa, v37
	v_fmac_f32_e32 v44, 0x3d64c772, v53
	v_fma_f32 v53, v60, s4, -v57
	v_add_f32_e32 v60, v43, v62
	v_add_f32_e32 v43, v41, v62
	v_fmac_f32_e32 v55, 0x3ee1c552, v50
	v_fma_f32 v56, v38, s7, -v59
	v_fma_f32 v59, v39, s7, -v61
	v_add_f32_e32 v61, v44, v40
	v_add_f32_e32 v44, v51, v40
	;; [unrolled: 1-line block ×3, first 2 shown]
	v_sub_f32_e32 v41, v43, v55
	v_add_f32_e32 v43, v55, v43
	v_mul_u32_u24_e32 v54, 0x7e0, v66
	v_lshlrev_b32_sdwa v55, v0, v67 dst_sel:DWORD dst_unused:UNUSED_PAD src0_sel:DWORD src1_sel:BYTE_0
	v_fmac_f32_e32 v57, 0x3eae86e6, v38
	v_fmac_f32_e32 v58, 0x3eae86e6, v39
	v_add3_u32 v54, 0, v54, v55
	v_fmac_f32_e32 v57, 0x3ee1c552, v42
	v_fmac_f32_e32 v58, 0x3ee1c552, v50
	ds_write2_b64 v54, v[6:7], v[8:9] offset1:36
	ds_write2_b64 v54, v[10:11], v[12:13] offset0:72 offset1:108
	ds_write2_b64 v54, v[14:15], v[31:32] offset0:144 offset1:180
	ds_write_b64 v54, v[33:34] offset:1728
	v_mul_u32_u24_e32 v6, 0x7e0, v27
	v_lshlrev_b32_sdwa v0, v0, v70 dst_sel:DWORD dst_unused:UNUSED_PAD src0_sel:DWORD src1_sel:BYTE_0
	v_add_f32_e32 v52, v52, v40
	v_fmac_f32_e32 v53, 0x3ee1c552, v42
	v_fmac_f32_e32 v56, 0x3ee1c552, v42
	;; [unrolled: 1-line block ×3, first 2 shown]
	v_add_f32_e32 v37, v58, v60
	v_sub_f32_e32 v38, v61, v57
	v_add3_u32 v0, 0, v6, v0
	v_add_f32_e32 v39, v59, v51
	v_sub_f32_e32 v40, v52, v56
	v_add_f32_e32 v42, v53, v44
	v_sub_f32_e32 v44, v44, v53
	v_sub_f32_e32 v50, v51, v59
	v_add_f32_e32 v51, v56, v52
	v_sub_f32_e32 v52, v60, v58
	v_add_f32_e32 v53, v57, v61
	ds_write2_b64 v0, v[35:36], v[37:38] offset1:36
	ds_write2_b64 v0, v[39:40], v[41:42] offset0:72 offset1:108
	ds_write2_b64 v0, v[43:44], v[50:51] offset0:144 offset1:180
	ds_write_b64 v0, v[52:53] offset:1728
	v_mul_u32_u24_e32 v0, 6, v18
	s_waitcnt lgkmcnt(0)
	s_barrier
	ds_read_b64 v[43:44], v25
	ds_read_b64 v[14:15], v48
	;; [unrolled: 1-line block ×4, first 2 shown]
	ds_read2_b64 v[6:9], v1 offset0:114 offset1:240
	ds_read2_b64 v[10:13], v2 offset0:110 offset1:236
	ds_read2_b64 v[31:34], v3 offset0:106 offset1:232
	ds_read_b64 v[58:59], v49
	ds_read2_b64 v[35:38], v5 offset0:2 offset1:254
	ds_read_b64 v[60:61], v25 offset:13104
	v_lshlrev_b32_e32 v5, 3, v0
	global_load_dwordx4 v[0:3], v5, s[12:13] offset:2032
	global_load_dwordx4 v[39:42], v5, s[12:13] offset:2016
	;; [unrolled: 1-line block ×3, first 2 shown]
	s_waitcnt vmcnt(2) lgkmcnt(4)
	v_mul_f32_e32 v63, v1, v12
	v_fmac_f32_e32 v63, v0, v13
	s_waitcnt vmcnt(0)
	v_mul_f32_e32 v5, v51, v15
	v_fma_f32 v5, v50, v14, -v5
	v_mul_f32_e32 v27, v51, v14
	v_mul_f32_e32 v14, v53, v55
	v_fma_f32 v62, v52, v54, -v14
	v_mul_f32_e32 v54, v53, v54
	v_mul_f32_e32 v14, v40, v57
	v_fmac_f32_e32 v54, v52, v55
	v_fma_f32 v55, v39, v56, -v14
	v_mul_f32_e32 v56, v40, v56
	v_mul_f32_e32 v14, v42, v9
	v_fmac_f32_e32 v56, v39, v57
	v_fma_f32 v57, v41, v8, -v14
	v_mul_f32_e32 v8, v42, v8
	v_fmac_f32_e32 v8, v41, v9
	v_mul_f32_e32 v9, v1, v13
	v_fma_f32 v9, v0, v12, -v9
	s_waitcnt lgkmcnt(3)
	v_mul_f32_e32 v0, v34, v3
	v_fma_f32 v64, v33, v2, -v0
	v_mul_f32_e32 v33, v33, v3
	v_mul_i32_i24_e32 v0, 6, v22
	v_mov_b32_e32 v1, 0
	v_fmac_f32_e32 v33, v34, v2
	v_lshlrev_b64 v[2:3], 3, v[0:1]
	v_mov_b32_e32 v0, s13
	v_add_co_u32_e32 v2, vcc, s12, v2
	v_addc_co_u32_e32 v3, vcc, v0, v3, vcc
	v_fmac_f32_e32 v27, v50, v15
	global_load_dwordx4 v[12:15], v[2:3], off offset:2032
	global_load_dwordx4 v[39:42], v[2:3], off offset:2016
	global_load_dwordx4 v[50:53], v[2:3], off offset:2000
	v_add_f32_e32 v3, v27, v33
	s_waitcnt vmcnt(0) lgkmcnt(0)
	s_barrier
	v_cmp_ne_u32_e32 vcc, 0, v18
	v_mul_f32_e32 v0, v36, v51
	v_mul_f32_e32 v34, v35, v51
	;; [unrolled: 1-line block ×3, first 2 shown]
	v_fma_f32 v0, v35, v50, -v0
	v_fmac_f32_e32 v34, v36, v50
	v_fma_f32 v35, v37, v52, -v2
	v_mul_f32_e32 v36, v37, v53
	v_mul_f32_e32 v2, v7, v40
	v_fmac_f32_e32 v36, v38, v52
	v_fma_f32 v37, v6, v39, -v2
	v_mul_f32_e32 v38, v6, v40
	v_mul_f32_e32 v2, v11, v42
	;; [unrolled: 4-line block ×4, first 2 shown]
	v_fma_f32 v50, v60, v14, -v2
	v_mul_f32_e32 v15, v60, v15
	v_add_f32_e32 v2, v5, v64
	v_add_f32_e32 v7, v62, v9
	v_fmac_f32_e32 v42, v32, v12
	v_fmac_f32_e32 v15, v61, v14
	v_sub_f32_e32 v6, v27, v33
	v_add_f32_e32 v10, v54, v63
	v_sub_f32_e32 v9, v62, v9
	v_add_f32_e32 v12, v55, v57
	;; [unrolled: 2-line block ×3, first 2 shown]
	v_sub_f32_e32 v5, v5, v64
	v_sub_f32_e32 v11, v54, v63
	v_add_f32_e32 v13, v56, v8
	v_sub_f32_e32 v8, v8, v56
	v_add_f32_e32 v31, v10, v3
	v_sub_f32_e32 v32, v7, v2
	v_sub_f32_e32 v51, v2, v12
	v_sub_f32_e32 v7, v12, v7
	v_add_f32_e32 v2, v14, v9
	v_add_f32_e32 v12, v12, v27
	v_sub_f32_e32 v33, v10, v3
	v_sub_f32_e32 v52, v3, v13
	v_sub_f32_e32 v10, v13, v10
	v_add_f32_e32 v3, v8, v11
	v_sub_f32_e32 v53, v14, v9
	v_sub_f32_e32 v14, v5, v14
	;; [unrolled: 1-line block ×3, first 2 shown]
	v_add_f32_e32 v13, v13, v31
	v_add_f32_e32 v5, v2, v5
	v_add_f32_e32 v2, v12, v43
	v_sub_f32_e32 v54, v8, v11
	v_sub_f32_e32 v8, v6, v8
	;; [unrolled: 1-line block ×3, first 2 shown]
	v_add_f32_e32 v6, v3, v6
	v_add_f32_e32 v3, v13, v44
	v_mov_b32_e32 v55, v2
	v_mul_f32_e32 v27, 0x3f4a47b2, v51
	v_mul_f32_e32 v31, 0x3f4a47b2, v52
	;; [unrolled: 1-line block ×6, first 2 shown]
	v_fmac_f32_e32 v55, 0xbf955555, v12
	v_mov_b32_e32 v12, v3
	v_mul_f32_e32 v53, 0x3f5ff5aa, v9
	v_mul_f32_e32 v54, 0x3f5ff5aa, v11
	v_fmac_f32_e32 v12, 0xbf955555, v13
	v_fma_f32 v13, v32, s6, -v43
	v_fma_f32 v43, v33, s6, -v44
	;; [unrolled: 1-line block ×3, first 2 shown]
	v_fmac_f32_e32 v27, 0x3d64c772, v7
	v_fma_f32 v7, v33, s5, -v31
	v_fmac_f32_e32 v31, 0x3d64c772, v10
	v_fma_f32 v33, v9, s4, -v51
	v_fma_f32 v11, v11, s4, -v52
	v_fmac_f32_e32 v52, 0x3eae86e6, v8
	v_fmac_f32_e32 v51, 0x3eae86e6, v14
	v_fma_f32 v14, v14, s7, -v53
	v_add_f32_e32 v27, v27, v55
	v_add_f32_e32 v53, v31, v12
	;; [unrolled: 1-line block ×3, first 2 shown]
	v_fmac_f32_e32 v52, 0x3ee1c552, v6
	v_fmac_f32_e32 v33, 0x3ee1c552, v5
	v_fma_f32 v44, v8, s7, -v54
	v_add_f32_e32 v43, v7, v12
	v_fmac_f32_e32 v51, 0x3ee1c552, v5
	v_fmac_f32_e32 v14, 0x3ee1c552, v5
	v_add_f32_e32 v5, v52, v27
	v_add_f32_e32 v10, v33, v31
	v_sub_f32_e32 v12, v31, v33
	v_sub_f32_e32 v31, v27, v52
	v_add_f32_e32 v27, v0, v50
	v_add_f32_e32 v33, v34, v15
	v_sub_f32_e32 v15, v34, v15
	v_add_f32_e32 v34, v35, v41
	v_add_f32_e32 v13, v13, v55
	;; [unrolled: 1-line block ×3, first 2 shown]
	v_fmac_f32_e32 v11, 0x3ee1c552, v6
	v_fmac_f32_e32 v44, 0x3ee1c552, v6
	v_sub_f32_e32 v8, v43, v14
	v_add_f32_e32 v14, v14, v43
	v_add_f32_e32 v43, v36, v42
	v_sub_f32_e32 v35, v35, v41
	v_sub_f32_e32 v36, v36, v42
	v_add_f32_e32 v41, v37, v39
	v_add_f32_e32 v42, v38, v40
	v_sub_f32_e32 v37, v39, v37
	v_add_f32_e32 v39, v34, v27
	v_sub_f32_e32 v6, v53, v51
	;; [unrolled: 2-line block ×5, first 2 shown]
	v_sub_f32_e32 v38, v40, v38
	v_add_f32_e32 v40, v43, v33
	v_sub_f32_e32 v50, v43, v33
	v_sub_f32_e32 v51, v33, v42
	v_add_f32_e32 v33, v37, v35
	v_add_f32_e32 v39, v41, v39
	v_sub_f32_e32 v44, v34, v27
	v_sub_f32_e32 v52, v41, v34
	v_add_f32_e32 v34, v38, v36
	v_sub_f32_e32 v53, v37, v35
	v_sub_f32_e32 v37, v0, v37
	;; [unrolled: 1-line block ×3, first 2 shown]
	v_add_f32_e32 v40, v42, v40
	v_add_f32_e32 v0, v33, v0
	;; [unrolled: 1-line block ×3, first 2 shown]
	v_sub_f32_e32 v27, v27, v41
	v_sub_f32_e32 v43, v42, v43
	;; [unrolled: 1-line block ×5, first 2 shown]
	v_add_f32_e32 v15, v34, v15
	v_add_f32_e32 v34, v40, v59
	v_mov_b32_e32 v57, v33
	v_mul_f32_e32 v27, 0x3f4a47b2, v27
	v_mul_f32_e32 v41, 0x3f4a47b2, v51
	;; [unrolled: 1-line block ×6, first 2 shown]
	v_fmac_f32_e32 v57, 0xbf955555, v39
	v_mov_b32_e32 v39, v34
	v_mul_f32_e32 v54, 0xbf08b237, v54
	v_mul_f32_e32 v56, 0x3f5ff5aa, v36
	v_fmac_f32_e32 v39, 0xbf955555, v40
	v_fma_f32 v40, v44, s6, -v42
	v_fma_f32 v42, v50, s6, -v51
	v_fma_f32 v44, v44, s5, -v27
	v_fmac_f32_e32 v27, 0x3d64c772, v52
	v_fma_f32 v50, v50, s5, -v41
	v_fmac_f32_e32 v41, 0x3d64c772, v43
	v_fma_f32 v43, v35, s4, -v53
	;; [unrolled: 2-line block ×3, first 2 shown]
	v_fma_f32 v51, v36, s4, -v54
	v_fmac_f32_e32 v54, 0x3eae86e6, v38
	v_fma_f32 v55, v38, s7, -v56
	v_fmac_f32_e32 v53, 0x3ee1c552, v0
	v_fmac_f32_e32 v43, 0x3ee1c552, v0
	;; [unrolled: 1-line block ×3, first 2 shown]
	v_add_u32_e32 v0, 0xfc0, v25
	v_add_f32_e32 v27, v27, v57
	v_add_f32_e32 v56, v41, v39
	;; [unrolled: 1-line block ×6, first 2 shown]
	v_fmac_f32_e32 v54, 0x3ee1c552, v15
	v_fmac_f32_e32 v51, 0x3ee1c552, v15
	;; [unrolled: 1-line block ×3, first 2 shown]
	ds_write2_b64 v0, v[7:8], v[9:10] offset1:252
	v_add_u32_e32 v0, 0x1f80, v25
	v_add_f32_e32 v35, v54, v27
	v_sub_f32_e32 v36, v56, v53
	v_add_f32_e32 v37, v55, v44
	v_sub_f32_e32 v38, v50, v52
	v_sub_f32_e32 v39, v41, v51
	v_add_f32_e32 v40, v43, v42
	ds_write2_b64 v25, v[2:3], v[5:6] offset1:252
	ds_write2_b64 v0, v[11:12], v[13:14] offset1:252
	ds_write_b64 v25, v[31:32] offset:12096
	ds_write2_b64 v49, v[33:34], v[35:36] offset1:252
	v_add_u32_e32 v0, 0xfc0, v49
	v_add_f32_e32 v41, v51, v41
	v_sub_f32_e32 v42, v42, v43
	v_sub_f32_e32 v43, v44, v55
	v_add_f32_e32 v44, v52, v50
	ds_write2_b64 v0, v[37:38], v[39:40] offset1:252
	v_add_u32_e32 v0, 0x1f80, v49
	v_sub_f32_e32 v50, v27, v54
	v_add_f32_e32 v51, v53, v56
	ds_write2_b64 v0, v[41:42], v[43:44] offset1:252
	ds_write_b64 v49, v[50:51] offset:12096
	s_waitcnt lgkmcnt(0)
	s_barrier
	ds_read_b64 v[2:3], v25
	s_add_u32 s6, s12, 0x3710
	s_addc_u32 s7, s13, 0
	v_sub_u32_e32 v5, 0, v19
                                        ; implicit-def: $vgpr0
                                        ; implicit-def: $vgpr7
                                        ; implicit-def: $vgpr8
	s_and_saveexec_b64 s[4:5], vcc
	s_xor_b64 s[4:5], exec, s[4:5]
	s_cbranch_execz .LBB0_23
; %bb.22:
	v_mov_b32_e32 v19, v1
	v_lshlrev_b64 v[0:1], 3, v[18:19]
	v_mov_b32_e32 v6, s7
	v_add_co_u32_e32 v0, vcc, s6, v0
	v_addc_co_u32_e32 v1, vcc, v6, v1, vcc
	global_load_dwordx2 v[6:7], v[0:1], off
	ds_read_b64 v[0:1], v5 offset:14112
	s_waitcnt lgkmcnt(0)
	v_add_f32_e32 v9, v0, v2
	v_sub_f32_e32 v0, v2, v0
	v_add_f32_e32 v8, v1, v3
	v_sub_f32_e32 v1, v3, v1
	v_mul_f32_e32 v3, 0.5, v0
	v_mul_f32_e32 v2, 0.5, v8
	;; [unrolled: 1-line block ×3, first 2 shown]
	s_waitcnt vmcnt(0)
	v_mul_f32_e32 v1, v7, v3
	v_fma_f32 v8, v2, v7, v0
	v_fma_f32 v10, v2, v7, -v0
	v_fma_f32 v7, 0.5, v9, v1
	v_fma_f32 v0, v9, 0.5, -v1
	v_fma_f32 v8, -v6, v3, v8
	v_fmac_f32_e32 v7, v6, v2
	v_fma_f32 v0, -v6, v2, v0
	v_fma_f32 v1, -v6, v3, v10
                                        ; implicit-def: $vgpr2_vgpr3
.LBB0_23:
	s_or_saveexec_b64 s[4:5], s[4:5]
	v_sub_u32_e32 v6, 0, v23
	s_xor_b64 exec, exec, s[4:5]
	s_cbranch_execz .LBB0_25
; %bb.24:
	v_mov_b32_e32 v8, 0
	ds_read_b32 v1, v8 offset:7060
	s_waitcnt lgkmcnt(1)
	v_add_f32_e32 v7, v2, v3
	v_sub_f32_e32 v0, v2, v3
	s_waitcnt lgkmcnt(0)
	v_xor_b32_e32 v1, 0x80000000, v1
	ds_write_b32 v8, v1 offset:7060
	v_mov_b32_e32 v1, 0
.LBB0_25:
	s_or_b64 exec, exec, s[4:5]
	v_mov_b32_e32 v23, 0
	s_waitcnt lgkmcnt(0)
	v_lshlrev_b64 v[2:3], 3, v[22:23]
	v_mov_b32_e32 v9, s7
	v_add_co_u32_e32 v2, vcc, s6, v2
	v_addc_co_u32_e32 v3, vcc, v9, v3, vcc
	global_load_dwordx2 v[2:3], v[2:3], off
	v_mov_b32_e32 v31, v23
	v_lshlrev_b64 v[9:10], 3, v[30:31]
	v_mov_b32_e32 v11, s7
	v_add_co_u32_e32 v9, vcc, s6, v9
	v_addc_co_u32_e32 v10, vcc, v11, v10, vcc
	global_load_dwordx2 v[9:10], v[9:10], off
	v_mov_b32_e32 v30, v23
	v_lshlrev_b64 v[11:12], 3, v[29:30]
	v_mov_b32_e32 v13, s7
	v_add_co_u32_e32 v11, vcc, s6, v11
	v_addc_co_u32_e32 v12, vcc, v13, v12, vcc
	global_load_dwordx2 v[11:12], v[11:12], off
	ds_write2_b32 v25, v7, v8 offset1:1
	ds_write_b64 v5, v[0:1] offset:14112
	v_mov_b32_e32 v25, v23
	v_lshlrev_b64 v[13:14], 3, v[24:25]
	v_mov_b32_e32 v15, s7
	v_add_co_u32_e32 v13, vcc, s6, v13
	ds_read_b64 v[0:1], v49
	ds_read_b64 v[7:8], v5 offset:13104
	v_addc_co_u32_e32 v14, vcc, v15, v14, vcc
	global_load_dwordx2 v[13:14], v[13:14], off
	v_mov_b32_e32 v27, v23
	v_mov_b32_e32 v29, v23
	v_lshlrev_b64 v[24:25], 3, v[26:27]
	v_lshlrev_b64 v[26:27], 3, v[28:29]
	s_waitcnt lgkmcnt(0)
	v_add_f32_e32 v15, v0, v7
	v_add_f32_e32 v28, v1, v8
	v_sub_f32_e32 v0, v0, v7
	v_sub_f32_e32 v1, v1, v8
	v_mul_f32_e32 v7, 0.5, v28
	v_mul_f32_e32 v0, 0.5, v0
	;; [unrolled: 1-line block ×3, first 2 shown]
	v_mov_b32_e32 v19, s7
	v_mov_b32_e32 v22, s7
	v_add_u32_e32 v6, v45, v6
	s_waitcnt vmcnt(3)
	v_mul_f32_e32 v8, v3, v0
	v_fma_f32 v28, v7, v3, v1
	v_fma_f32 v1, v7, v3, -v1
	v_fma_f32 v3, 0.5, v15, v8
	v_fma_f32 v28, -v2, v0, v28
	v_fma_f32 v8, v15, 0.5, -v8
	v_fma_f32 v0, -v2, v0, v1
	v_fmac_f32_e32 v3, v2, v7
	ds_write_b32 v49, v28 offset:4
	v_fma_f32 v1, -v2, v7, v8
	ds_write_b32 v5, v0 offset:13108
	ds_write_b32 v49, v3
	ds_write_b32 v5, v1 offset:13104
	v_add_co_u32_e32 v7, vcc, s6, v24
	ds_read_b64 v[0:1], v48
	ds_read_b64 v[2:3], v5 offset:12096
	v_addc_co_u32_e32 v8, vcc, v19, v25, vcc
	global_load_dwordx2 v[7:8], v[7:8], off
	s_waitcnt lgkmcnt(0)
	v_add_f32_e32 v15, v0, v2
	v_sub_f32_e32 v0, v0, v2
	v_add_f32_e32 v19, v1, v3
	v_sub_f32_e32 v1, v1, v3
	v_mul_f32_e32 v0, 0.5, v0
	v_mul_f32_e32 v2, 0.5, v19
	;; [unrolled: 1-line block ×3, first 2 shown]
	s_waitcnt vmcnt(3)
	v_mul_f32_e32 v3, v10, v0
	v_fma_f32 v19, v2, v10, v1
	v_fma_f32 v1, v2, v10, -v1
	v_fma_f32 v10, 0.5, v15, v3
	v_fma_f32 v3, v15, 0.5, -v3
	v_fma_f32 v19, -v9, v0, v19
	v_fma_f32 v0, -v9, v0, v1
	v_fmac_f32_e32 v10, v9, v2
	v_fma_f32 v1, -v9, v2, v3
	v_add_co_u32_e32 v9, vcc, s6, v26
	ds_write_b32 v48, v19 offset:4
	ds_write_b32 v5, v0 offset:12100
	ds_write_b32 v48, v10
	ds_write_b32 v5, v1 offset:12096
	v_addc_co_u32_e32 v10, vcc, v22, v27, vcc
	ds_read_b64 v[0:1], v47
	ds_read_b64 v[2:3], v5 offset:11088
	global_load_dwordx2 v[9:10], v[9:10], off
	s_waitcnt lgkmcnt(0)
	v_add_f32_e32 v15, v0, v2
	v_add_f32_e32 v19, v1, v3
	v_sub_f32_e32 v0, v0, v2
	v_sub_f32_e32 v1, v1, v3
	v_mul_f32_e32 v2, 0.5, v19
	v_mul_f32_e32 v0, 0.5, v0
	v_mul_f32_e32 v1, 0.5, v1
	s_waitcnt vmcnt(3)
	v_mul_f32_e32 v3, v12, v0
	v_fma_f32 v19, v2, v12, v1
	v_fma_f32 v1, v2, v12, -v1
	v_fma_f32 v22, 0.5, v15, v3
	v_fma_f32 v19, -v11, v0, v19
	v_fma_f32 v3, v15, 0.5, -v3
	v_fma_f32 v0, -v11, v0, v1
	v_fmac_f32_e32 v22, v11, v2
	ds_write_b32 v47, v19 offset:4
	v_fma_f32 v3, -v11, v2, v3
	ds_write_b32 v5, v0 offset:11092
	ds_write_b32 v47, v22
	ds_write_b32 v5, v3 offset:11088
	ds_read_b64 v[0:1], v46
	ds_read_b64 v[2:3], v5 offset:10080
	s_waitcnt lgkmcnt(0)
	v_add_f32_e32 v11, v0, v2
	v_add_f32_e32 v12, v1, v3
	v_sub_f32_e32 v0, v0, v2
	v_sub_f32_e32 v1, v1, v3
	v_mul_f32_e32 v12, 0.5, v12
	v_mul_f32_e32 v0, 0.5, v0
	v_mul_f32_e32 v1, 0.5, v1
	s_waitcnt vmcnt(2)
	v_mul_f32_e32 v2, v14, v0
	v_fma_f32 v15, v12, v14, v1
	v_fma_f32 v1, v12, v14, -v1
	v_fma_f32 v3, 0.5, v11, v2
	v_fma_f32 v15, -v13, v0, v15
	v_fma_f32 v2, v11, 0.5, -v2
	v_fma_f32 v0, -v13, v0, v1
	v_fmac_f32_e32 v3, v13, v12
	ds_write_b32 v46, v15 offset:4
	v_fma_f32 v2, -v13, v12, v2
	ds_write_b32 v5, v0 offset:10084
	ds_write_b32 v46, v3
	ds_write_b32 v5, v2 offset:10080
	ds_read_b64 v[0:1], v6
	ds_read_b64 v[2:3], v5 offset:9072
	;; [unrolled: 24-line block ×3, first 2 shown]
	s_waitcnt lgkmcnt(0)
	v_add_f32_e32 v6, v0, v2
	v_add_f32_e32 v7, v1, v3
	v_sub_f32_e32 v0, v0, v2
	v_sub_f32_e32 v1, v1, v3
	v_mul_f32_e32 v7, 0.5, v7
	v_mul_f32_e32 v0, 0.5, v0
	;; [unrolled: 1-line block ×3, first 2 shown]
	s_waitcnt vmcnt(0)
	v_mul_f32_e32 v2, v10, v0
	v_fma_f32 v8, v7, v10, v1
	v_fma_f32 v1, v7, v10, -v1
	v_fma_f32 v3, 0.5, v6, v2
	v_fma_f32 v8, -v9, v0, v8
	v_fma_f32 v2, v6, 0.5, -v2
	v_fma_f32 v0, -v9, v0, v1
	v_fmac_f32_e32 v3, v9, v7
	ds_write_b32 v4, v8 offset:4
	v_fma_f32 v2, -v9, v7, v2
	ds_write_b32 v5, v0 offset:8068
	ds_write_b32 v4, v3
	ds_write_b32 v5, v2 offset:8064
	s_waitcnt lgkmcnt(0)
	s_barrier
	s_and_saveexec_b64 s[4:5], s[0:1]
	s_cbranch_execz .LBB0_28
; %bb.26:
	v_mul_lo_u32 v2, s3, v20
	v_mul_lo_u32 v3, s2, v21
	v_mad_u64_u32 v[0:1], s[0:1], s2, v20, 0
	v_mov_b32_e32 v6, s11
	v_lshl_add_u32 v8, v18, 3, 0
	v_add3_u32 v1, v1, v3, v2
	v_lshlrev_b64 v[0:1], 3, v[0:1]
	v_mov_b32_e32 v19, v23
	v_add_co_u32_e32 v0, vcc, s10, v0
	v_addc_co_u32_e32 v9, vcc, v6, v1, vcc
	v_lshlrev_b64 v[6:7], 3, v[16:17]
	ds_read2_b64 v[2:5], v8 offset1:126
	v_add_co_u32_e32 v1, vcc, v0, v6
	v_addc_co_u32_e32 v0, vcc, v9, v7, vcc
	v_lshlrev_b64 v[6:7], 3, v[18:19]
	v_add_u32_e32 v22, 0x7e, v18
	v_add_co_u32_e32 v6, vcc, v1, v6
	v_addc_co_u32_e32 v7, vcc, v0, v7, vcc
	s_waitcnt lgkmcnt(0)
	global_store_dwordx2 v[6:7], v[2:3], off
	v_lshlrev_b64 v[2:3], 3, v[22:23]
	v_add_u32_e32 v22, 0xfc, v18
	v_add_co_u32_e32 v2, vcc, v1, v2
	v_addc_co_u32_e32 v3, vcc, v0, v3, vcc
	global_store_dwordx2 v[2:3], v[4:5], off
	v_add_u32_e32 v2, 0x400, v8
	ds_read2_b64 v[2:5], v2 offset0:124 offset1:250
	v_lshlrev_b64 v[6:7], 3, v[22:23]
	v_add_u32_e32 v22, 0x17a, v18
	v_add_co_u32_e32 v6, vcc, v1, v6
	v_addc_co_u32_e32 v7, vcc, v0, v7, vcc
	s_waitcnt lgkmcnt(0)
	global_store_dwordx2 v[6:7], v[2:3], off
	v_lshlrev_b64 v[2:3], 3, v[22:23]
	v_add_u32_e32 v22, 0x1f8, v18
	v_add_co_u32_e32 v2, vcc, v1, v2
	v_addc_co_u32_e32 v3, vcc, v0, v3, vcc
	global_store_dwordx2 v[2:3], v[4:5], off
	v_add_u32_e32 v2, 0xc00, v8
	ds_read2_b64 v[2:5], v2 offset0:120 offset1:246
	;; [unrolled: 13-line block ×6, first 2 shown]
	v_lshlrev_b64 v[6:7], 3, v[22:23]
	v_add_u32_e32 v22, 0x666, v18
	v_add_co_u32_e32 v6, vcc, v1, v6
	v_addc_co_u32_e32 v7, vcc, v0, v7, vcc
	s_waitcnt lgkmcnt(0)
	global_store_dwordx2 v[6:7], v[2:3], off
	v_lshlrev_b64 v[2:3], 3, v[22:23]
	s_movk_i32 s0, 0x7d
	v_add_co_u32_e32 v2, vcc, v1, v2
	v_addc_co_u32_e32 v3, vcc, v0, v3, vcc
	v_cmp_eq_u32_e32 vcc, s0, v18
	global_store_dwordx2 v[2:3], v[4:5], off
	s_and_b64 exec, exec, vcc
	s_cbranch_execz .LBB0_28
; %bb.27:
	v_mov_b32_e32 v2, 0
	ds_read_b64 v[2:3], v2 offset:14112
	v_add_co_u32_e32 v4, vcc, 0x3000, v1
	v_addc_co_u32_e32 v5, vcc, 0, v0, vcc
	s_waitcnt lgkmcnt(0)
	global_store_dwordx2 v[4:5], v[2:3], off offset:1824
.LBB0_28:
	s_endpgm
	.section	.rodata,"a",@progbits
	.p2align	6, 0x0
	.amdhsa_kernel fft_rtc_fwd_len1764_factors_2_2_3_3_7_7_wgs_126_tpt_126_halfLds_sp_op_CI_CI_unitstride_sbrr_R2C_dirReg
		.amdhsa_group_segment_fixed_size 0
		.amdhsa_private_segment_fixed_size 0
		.amdhsa_kernarg_size 104
		.amdhsa_user_sgpr_count 6
		.amdhsa_user_sgpr_private_segment_buffer 1
		.amdhsa_user_sgpr_dispatch_ptr 0
		.amdhsa_user_sgpr_queue_ptr 0
		.amdhsa_user_sgpr_kernarg_segment_ptr 1
		.amdhsa_user_sgpr_dispatch_id 0
		.amdhsa_user_sgpr_flat_scratch_init 0
		.amdhsa_user_sgpr_private_segment_size 0
		.amdhsa_uses_dynamic_stack 0
		.amdhsa_system_sgpr_private_segment_wavefront_offset 0
		.amdhsa_system_sgpr_workgroup_id_x 1
		.amdhsa_system_sgpr_workgroup_id_y 0
		.amdhsa_system_sgpr_workgroup_id_z 0
		.amdhsa_system_sgpr_workgroup_info 0
		.amdhsa_system_vgpr_workitem_id 0
		.amdhsa_next_free_vgpr 83
		.amdhsa_next_free_sgpr 28
		.amdhsa_reserve_vcc 1
		.amdhsa_reserve_flat_scratch 0
		.amdhsa_float_round_mode_32 0
		.amdhsa_float_round_mode_16_64 0
		.amdhsa_float_denorm_mode_32 3
		.amdhsa_float_denorm_mode_16_64 3
		.amdhsa_dx10_clamp 1
		.amdhsa_ieee_mode 1
		.amdhsa_fp16_overflow 0
		.amdhsa_exception_fp_ieee_invalid_op 0
		.amdhsa_exception_fp_denorm_src 0
		.amdhsa_exception_fp_ieee_div_zero 0
		.amdhsa_exception_fp_ieee_overflow 0
		.amdhsa_exception_fp_ieee_underflow 0
		.amdhsa_exception_fp_ieee_inexact 0
		.amdhsa_exception_int_div_zero 0
	.end_amdhsa_kernel
	.text
.Lfunc_end0:
	.size	fft_rtc_fwd_len1764_factors_2_2_3_3_7_7_wgs_126_tpt_126_halfLds_sp_op_CI_CI_unitstride_sbrr_R2C_dirReg, .Lfunc_end0-fft_rtc_fwd_len1764_factors_2_2_3_3_7_7_wgs_126_tpt_126_halfLds_sp_op_CI_CI_unitstride_sbrr_R2C_dirReg
                                        ; -- End function
	.section	.AMDGPU.csdata,"",@progbits
; Kernel info:
; codeLenInByte = 10044
; NumSgprs: 32
; NumVgprs: 83
; ScratchSize: 0
; MemoryBound: 0
; FloatMode: 240
; IeeeMode: 1
; LDSByteSize: 0 bytes/workgroup (compile time only)
; SGPRBlocks: 3
; VGPRBlocks: 20
; NumSGPRsForWavesPerEU: 32
; NumVGPRsForWavesPerEU: 83
; Occupancy: 3
; WaveLimiterHint : 1
; COMPUTE_PGM_RSRC2:SCRATCH_EN: 0
; COMPUTE_PGM_RSRC2:USER_SGPR: 6
; COMPUTE_PGM_RSRC2:TRAP_HANDLER: 0
; COMPUTE_PGM_RSRC2:TGID_X_EN: 1
; COMPUTE_PGM_RSRC2:TGID_Y_EN: 0
; COMPUTE_PGM_RSRC2:TGID_Z_EN: 0
; COMPUTE_PGM_RSRC2:TIDIG_COMP_CNT: 0
	.type	__hip_cuid_de12dbca9652a969,@object ; @__hip_cuid_de12dbca9652a969
	.section	.bss,"aw",@nobits
	.globl	__hip_cuid_de12dbca9652a969
__hip_cuid_de12dbca9652a969:
	.byte	0                               ; 0x0
	.size	__hip_cuid_de12dbca9652a969, 1

	.ident	"AMD clang version 19.0.0git (https://github.com/RadeonOpenCompute/llvm-project roc-6.4.0 25133 c7fe45cf4b819c5991fe208aaa96edf142730f1d)"
	.section	".note.GNU-stack","",@progbits
	.addrsig
	.addrsig_sym __hip_cuid_de12dbca9652a969
	.amdgpu_metadata
---
amdhsa.kernels:
  - .args:
      - .actual_access:  read_only
        .address_space:  global
        .offset:         0
        .size:           8
        .value_kind:     global_buffer
      - .offset:         8
        .size:           8
        .value_kind:     by_value
      - .actual_access:  read_only
        .address_space:  global
        .offset:         16
        .size:           8
        .value_kind:     global_buffer
      - .actual_access:  read_only
        .address_space:  global
        .offset:         24
        .size:           8
        .value_kind:     global_buffer
      - .actual_access:  read_only
        .address_space:  global
        .offset:         32
        .size:           8
        .value_kind:     global_buffer
      - .offset:         40
        .size:           8
        .value_kind:     by_value
      - .actual_access:  read_only
        .address_space:  global
        .offset:         48
        .size:           8
        .value_kind:     global_buffer
      - .actual_access:  read_only
        .address_space:  global
        .offset:         56
        .size:           8
        .value_kind:     global_buffer
      - .offset:         64
        .size:           4
        .value_kind:     by_value
      - .actual_access:  read_only
        .address_space:  global
        .offset:         72
        .size:           8
        .value_kind:     global_buffer
      - .actual_access:  read_only
        .address_space:  global
        .offset:         80
        .size:           8
        .value_kind:     global_buffer
      - .actual_access:  read_only
        .address_space:  global
        .offset:         88
        .size:           8
        .value_kind:     global_buffer
      - .actual_access:  write_only
        .address_space:  global
        .offset:         96
        .size:           8
        .value_kind:     global_buffer
    .group_segment_fixed_size: 0
    .kernarg_segment_align: 8
    .kernarg_segment_size: 104
    .language:       OpenCL C
    .language_version:
      - 2
      - 0
    .max_flat_workgroup_size: 126
    .name:           fft_rtc_fwd_len1764_factors_2_2_3_3_7_7_wgs_126_tpt_126_halfLds_sp_op_CI_CI_unitstride_sbrr_R2C_dirReg
    .private_segment_fixed_size: 0
    .sgpr_count:     32
    .sgpr_spill_count: 0
    .symbol:         fft_rtc_fwd_len1764_factors_2_2_3_3_7_7_wgs_126_tpt_126_halfLds_sp_op_CI_CI_unitstride_sbrr_R2C_dirReg.kd
    .uniform_work_group_size: 1
    .uses_dynamic_stack: false
    .vgpr_count:     83
    .vgpr_spill_count: 0
    .wavefront_size: 64
amdhsa.target:   amdgcn-amd-amdhsa--gfx906
amdhsa.version:
  - 1
  - 2
...

	.end_amdgpu_metadata
